;; amdgpu-corpus repo=ROCm/rocFFT kind=compiled arch=gfx1030 opt=O3
	.text
	.amdgcn_target "amdgcn-amd-amdhsa--gfx1030"
	.amdhsa_code_object_version 6
	.protected	fft_rtc_back_len390_factors_13_3_10_wgs_117_tpt_39_dp_ip_CI_unitstride_sbrr_dirReg ; -- Begin function fft_rtc_back_len390_factors_13_3_10_wgs_117_tpt_39_dp_ip_CI_unitstride_sbrr_dirReg
	.globl	fft_rtc_back_len390_factors_13_3_10_wgs_117_tpt_39_dp_ip_CI_unitstride_sbrr_dirReg
	.p2align	8
	.type	fft_rtc_back_len390_factors_13_3_10_wgs_117_tpt_39_dp_ip_CI_unitstride_sbrr_dirReg,@function
fft_rtc_back_len390_factors_13_3_10_wgs_117_tpt_39_dp_ip_CI_unitstride_sbrr_dirReg: ; @fft_rtc_back_len390_factors_13_3_10_wgs_117_tpt_39_dp_ip_CI_unitstride_sbrr_dirReg
; %bb.0:
	s_load_dwordx4 s[8:11], s[4:5], 0x0
	v_mul_u32_u24_e32 v1, 0x691, v0
	s_clause 0x1
	s_load_dwordx2 s[2:3], s[4:5], 0x50
	s_load_dwordx2 s[12:13], s[4:5], 0x18
	v_mov_b32_e32 v3, 0
	v_lshrrev_b32_e32 v1, 16, v1
	v_mad_u64_u32 v[69:70], null, s6, 3, v[1:2]
	v_mov_b32_e32 v70, v3
	v_mov_b32_e32 v1, 0
	;; [unrolled: 1-line block ×4, first 2 shown]
	s_waitcnt lgkmcnt(0)
	v_cmp_lt_u64_e64 s0, s[10:11], 2
	v_mov_b32_e32 v8, v70
	s_and_b32 vcc_lo, exec_lo, s0
	s_cbranch_vccnz .LBB0_8
; %bb.1:
	s_load_dwordx2 s[0:1], s[4:5], 0x10
	v_mov_b32_e32 v1, 0
	v_mov_b32_e32 v5, v69
	s_add_u32 s6, s12, 8
	v_mov_b32_e32 v2, 0
	v_mov_b32_e32 v6, v70
	s_addc_u32 s7, s13, 0
	s_mov_b64 s[16:17], 1
	s_waitcnt lgkmcnt(0)
	s_add_u32 s14, s0, 8
	s_addc_u32 s15, s1, 0
.LBB0_2:                                ; =>This Inner Loop Header: Depth=1
	s_load_dwordx2 s[18:19], s[14:15], 0x0
                                        ; implicit-def: $vgpr7_vgpr8
	s_mov_b32 s0, exec_lo
	s_waitcnt lgkmcnt(0)
	v_or_b32_e32 v4, s19, v6
	v_cmpx_ne_u64_e32 0, v[3:4]
	s_xor_b32 s1, exec_lo, s0
	s_cbranch_execz .LBB0_4
; %bb.3:                                ;   in Loop: Header=BB0_2 Depth=1
	v_cvt_f32_u32_e32 v4, s18
	v_cvt_f32_u32_e32 v7, s19
	s_sub_u32 s0, 0, s18
	s_subb_u32 s20, 0, s19
	v_fmac_f32_e32 v4, 0x4f800000, v7
	v_rcp_f32_e32 v4, v4
	v_mul_f32_e32 v4, 0x5f7ffffc, v4
	v_mul_f32_e32 v7, 0x2f800000, v4
	v_trunc_f32_e32 v7, v7
	v_fmac_f32_e32 v4, 0xcf800000, v7
	v_cvt_u32_f32_e32 v7, v7
	v_cvt_u32_f32_e32 v4, v4
	v_mul_lo_u32 v8, s0, v7
	v_mul_hi_u32 v9, s0, v4
	v_mul_lo_u32 v10, s20, v4
	v_add_nc_u32_e32 v8, v9, v8
	v_mul_lo_u32 v9, s0, v4
	v_add_nc_u32_e32 v8, v8, v10
	v_mul_hi_u32 v10, v4, v9
	v_mul_lo_u32 v11, v4, v8
	v_mul_hi_u32 v12, v4, v8
	v_mul_hi_u32 v13, v7, v9
	v_mul_lo_u32 v9, v7, v9
	v_mul_hi_u32 v14, v7, v8
	v_mul_lo_u32 v8, v7, v8
	v_add_co_u32 v10, vcc_lo, v10, v11
	v_add_co_ci_u32_e32 v11, vcc_lo, 0, v12, vcc_lo
	v_add_co_u32 v9, vcc_lo, v10, v9
	v_add_co_ci_u32_e32 v9, vcc_lo, v11, v13, vcc_lo
	v_add_co_ci_u32_e32 v10, vcc_lo, 0, v14, vcc_lo
	v_add_co_u32 v8, vcc_lo, v9, v8
	v_add_co_ci_u32_e32 v9, vcc_lo, 0, v10, vcc_lo
	v_add_co_u32 v4, vcc_lo, v4, v8
	v_add_co_ci_u32_e32 v7, vcc_lo, v7, v9, vcc_lo
	v_mul_hi_u32 v8, s0, v4
	v_mul_lo_u32 v10, s20, v4
	v_mul_lo_u32 v9, s0, v7
	v_add_nc_u32_e32 v8, v8, v9
	v_mul_lo_u32 v9, s0, v4
	v_add_nc_u32_e32 v8, v8, v10
	v_mul_hi_u32 v10, v4, v9
	v_mul_lo_u32 v11, v4, v8
	v_mul_hi_u32 v12, v4, v8
	v_mul_hi_u32 v13, v7, v9
	v_mul_lo_u32 v9, v7, v9
	v_mul_hi_u32 v14, v7, v8
	v_mul_lo_u32 v8, v7, v8
	v_add_co_u32 v10, vcc_lo, v10, v11
	v_add_co_ci_u32_e32 v11, vcc_lo, 0, v12, vcc_lo
	v_add_co_u32 v9, vcc_lo, v10, v9
	v_add_co_ci_u32_e32 v9, vcc_lo, v11, v13, vcc_lo
	v_add_co_ci_u32_e32 v10, vcc_lo, 0, v14, vcc_lo
	v_add_co_u32 v8, vcc_lo, v9, v8
	v_add_co_ci_u32_e32 v9, vcc_lo, 0, v10, vcc_lo
	v_add_co_u32 v4, vcc_lo, v4, v8
	v_add_co_ci_u32_e32 v11, vcc_lo, v7, v9, vcc_lo
	v_mul_hi_u32 v13, v5, v4
	v_mad_u64_u32 v[9:10], null, v6, v4, 0
	v_mad_u64_u32 v[7:8], null, v5, v11, 0
	v_mad_u64_u32 v[11:12], null, v6, v11, 0
	v_add_co_u32 v4, vcc_lo, v13, v7
	v_add_co_ci_u32_e32 v7, vcc_lo, 0, v8, vcc_lo
	v_add_co_u32 v4, vcc_lo, v4, v9
	v_add_co_ci_u32_e32 v4, vcc_lo, v7, v10, vcc_lo
	v_add_co_ci_u32_e32 v7, vcc_lo, 0, v12, vcc_lo
	v_add_co_u32 v4, vcc_lo, v4, v11
	v_add_co_ci_u32_e32 v9, vcc_lo, 0, v7, vcc_lo
	v_mul_lo_u32 v10, s19, v4
	v_mad_u64_u32 v[7:8], null, s18, v4, 0
	v_mul_lo_u32 v11, s18, v9
	v_sub_co_u32 v7, vcc_lo, v5, v7
	v_add3_u32 v8, v8, v11, v10
	v_sub_nc_u32_e32 v10, v6, v8
	v_subrev_co_ci_u32_e64 v10, s0, s19, v10, vcc_lo
	v_add_co_u32 v11, s0, v4, 2
	v_add_co_ci_u32_e64 v12, s0, 0, v9, s0
	v_sub_co_u32 v13, s0, v7, s18
	v_sub_co_ci_u32_e32 v8, vcc_lo, v6, v8, vcc_lo
	v_subrev_co_ci_u32_e64 v10, s0, 0, v10, s0
	v_cmp_le_u32_e32 vcc_lo, s18, v13
	v_cmp_eq_u32_e64 s0, s19, v8
	v_cndmask_b32_e64 v13, 0, -1, vcc_lo
	v_cmp_le_u32_e32 vcc_lo, s19, v10
	v_cndmask_b32_e64 v14, 0, -1, vcc_lo
	v_cmp_le_u32_e32 vcc_lo, s18, v7
	;; [unrolled: 2-line block ×3, first 2 shown]
	v_cndmask_b32_e64 v15, 0, -1, vcc_lo
	v_cmp_eq_u32_e32 vcc_lo, s19, v10
	v_cndmask_b32_e64 v7, v15, v7, s0
	v_cndmask_b32_e32 v10, v14, v13, vcc_lo
	v_add_co_u32 v13, vcc_lo, v4, 1
	v_add_co_ci_u32_e32 v14, vcc_lo, 0, v9, vcc_lo
	v_cmp_ne_u32_e32 vcc_lo, 0, v10
	v_cndmask_b32_e32 v8, v14, v12, vcc_lo
	v_cndmask_b32_e32 v10, v13, v11, vcc_lo
	v_cmp_ne_u32_e32 vcc_lo, 0, v7
	v_cndmask_b32_e32 v8, v9, v8, vcc_lo
	v_cndmask_b32_e32 v7, v4, v10, vcc_lo
.LBB0_4:                                ;   in Loop: Header=BB0_2 Depth=1
	s_andn2_saveexec_b32 s0, s1
	s_cbranch_execz .LBB0_6
; %bb.5:                                ;   in Loop: Header=BB0_2 Depth=1
	v_cvt_f32_u32_e32 v4, s18
	s_sub_i32 s1, 0, s18
	v_rcp_iflag_f32_e32 v4, v4
	v_mul_f32_e32 v4, 0x4f7ffffe, v4
	v_cvt_u32_f32_e32 v4, v4
	v_mul_lo_u32 v7, s1, v4
	v_mul_hi_u32 v7, v4, v7
	v_add_nc_u32_e32 v4, v4, v7
	v_mul_hi_u32 v4, v5, v4
	v_mul_lo_u32 v7, v4, s18
	v_add_nc_u32_e32 v8, 1, v4
	v_sub_nc_u32_e32 v7, v5, v7
	v_subrev_nc_u32_e32 v9, s18, v7
	v_cmp_le_u32_e32 vcc_lo, s18, v7
	v_cndmask_b32_e32 v7, v7, v9, vcc_lo
	v_cndmask_b32_e32 v4, v4, v8, vcc_lo
	v_cmp_le_u32_e32 vcc_lo, s18, v7
	v_add_nc_u32_e32 v8, 1, v4
	v_cndmask_b32_e32 v7, v4, v8, vcc_lo
	v_mov_b32_e32 v8, v3
.LBB0_6:                                ;   in Loop: Header=BB0_2 Depth=1
	s_or_b32 exec_lo, exec_lo, s0
	s_load_dwordx2 s[0:1], s[6:7], 0x0
	v_mul_lo_u32 v4, v8, s18
	v_mul_lo_u32 v11, v7, s19
	v_mad_u64_u32 v[9:10], null, v7, s18, 0
	s_add_u32 s16, s16, 1
	s_addc_u32 s17, s17, 0
	s_add_u32 s6, s6, 8
	s_addc_u32 s7, s7, 0
	;; [unrolled: 2-line block ×3, first 2 shown]
	v_add3_u32 v4, v10, v11, v4
	v_sub_co_u32 v5, vcc_lo, v5, v9
	v_sub_co_ci_u32_e32 v4, vcc_lo, v6, v4, vcc_lo
	s_waitcnt lgkmcnt(0)
	v_mul_lo_u32 v6, s1, v5
	v_mul_lo_u32 v4, s0, v4
	v_mad_u64_u32 v[1:2], null, s0, v5, v[1:2]
	v_cmp_ge_u64_e64 s0, s[16:17], s[10:11]
	s_and_b32 vcc_lo, exec_lo, s0
	v_add3_u32 v2, v6, v2, v4
	s_cbranch_vccnz .LBB0_8
; %bb.7:                                ;   in Loop: Header=BB0_2 Depth=1
	v_mov_b32_e32 v5, v7
	v_mov_b32_e32 v6, v8
	s_branch .LBB0_2
.LBB0_8:
	s_lshl_b64 s[0:1], s[10:11], 3
	v_mul_hi_u32 v3, 0x6906907, v0
	s_add_u32 s0, s12, s0
	s_addc_u32 s1, s13, s1
	v_mov_b32_e32 v66, 0
	s_load_dwordx2 s[0:1], s[0:1], 0x0
	s_load_dwordx2 s[4:5], s[4:5], 0x20
                                        ; implicit-def: $vgpr10_vgpr11
                                        ; implicit-def: $vgpr14_vgpr15
                                        ; implicit-def: $vgpr18_vgpr19
                                        ; implicit-def: $vgpr26_vgpr27
                                        ; implicit-def: $vgpr30_vgpr31
                                        ; implicit-def: $vgpr42_vgpr43
                                        ; implicit-def: $vgpr58_vgpr59
                                        ; implicit-def: $vgpr62_vgpr63
                                        ; implicit-def: $vgpr46_vgpr47
                                        ; implicit-def: $vgpr54_vgpr55
                                        ; implicit-def: $vgpr50_vgpr51
	s_waitcnt lgkmcnt(0)
	v_mul_lo_u32 v4, s0, v8
	v_mul_lo_u32 v5, s1, v7
	v_mad_u64_u32 v[64:65], null, s0, v7, v[1:2]
	v_mul_u32_u24_e32 v1, 39, v3
	v_cmp_gt_u64_e32 vcc_lo, s[4:5], v[7:8]
                                        ; implicit-def: $vgpr6_vgpr7
                                        ; implicit-def: $vgpr2_vgpr3
	v_sub_nc_u32_e32 v67, v0, v1
	v_add3_u32 v65, v5, v65, v4
	s_and_saveexec_b32 s1, vcc_lo
	s_cbranch_execz .LBB0_12
; %bb.9:
	s_mov_b32 s4, exec_lo
                                        ; implicit-def: $vgpr0_vgpr1
                                        ; implicit-def: $vgpr48_vgpr49
                                        ; implicit-def: $vgpr52_vgpr53
                                        ; implicit-def: $vgpr44_vgpr45
                                        ; implicit-def: $vgpr60_vgpr61
                                        ; implicit-def: $vgpr56_vgpr57
                                        ; implicit-def: $vgpr40_vgpr41
                                        ; implicit-def: $vgpr28_vgpr29
                                        ; implicit-def: $vgpr24_vgpr25
                                        ; implicit-def: $vgpr16_vgpr17
                                        ; implicit-def: $vgpr12_vgpr13
                                        ; implicit-def: $vgpr8_vgpr9
                                        ; implicit-def: $vgpr4_vgpr5
	v_cmpx_gt_u32_e32 30, v67
	s_cbranch_execz .LBB0_11
; %bb.10:
	v_mov_b32_e32 v68, 0
	v_lshlrev_b64 v[0:1], 4, v[64:65]
	v_lshlrev_b64 v[2:3], 4, v[67:68]
	v_add_co_u32 v0, s0, s2, v0
	v_add_co_ci_u32_e64 v1, s0, s3, v1, s0
	v_add_co_u32 v4, s0, v0, v2
	v_add_co_ci_u32_e64 v5, s0, v1, v3, s0
	s_clause 0x3
	global_load_dwordx4 v[0:3], v[4:5], off
	global_load_dwordx4 v[48:51], v[4:5], off offset:480
	global_load_dwordx4 v[52:55], v[4:5], off offset:960
	;; [unrolled: 1-line block ×3, first 2 shown]
	v_add_co_u32 v6, s0, 0x800, v4
	v_add_co_ci_u32_e64 v7, s0, 0, v5, s0
	v_add_co_u32 v20, s0, 0x1000, v4
	v_add_co_ci_u32_e64 v21, s0, 0, v5, s0
	s_clause 0x8
	global_load_dwordx4 v[60:63], v[4:5], off offset:1920
	global_load_dwordx4 v[56:59], v[6:7], off offset:352
	;; [unrolled: 1-line block ×9, first 2 shown]
.LBB0_11:
	s_or_b32 exec_lo, exec_lo, s4
	v_mov_b32_e32 v66, v67
.LBB0_12:
	s_or_b32 exec_lo, exec_lo, s1
	s_waitcnt vmcnt(0)
	v_add_f64 v[70:71], v[50:51], -v[6:7]
	v_add_f64 v[84:85], v[48:49], -v[4:5]
	s_mov_b32 s10, 0x42a4c3d2
	s_mov_b32 s4, 0x2ef20147
	;; [unrolled: 1-line block ×6, first 2 shown]
	v_add_f64 v[82:83], v[4:5], v[48:49]
	v_add_f64 v[72:73], v[54:55], -v[10:11]
	v_add_f64 v[74:75], v[6:7], v[50:51]
	v_add_f64 v[78:79], v[52:53], -v[8:9]
	s_mov_b32 s6, 0x1ea71119
	s_mov_b32 s18, 0xb2365da1
	s_mov_b32 s14, 0x4bc48dbf
	s_mov_b32 s20, 0xebaa3ed8
	s_mov_b32 s22, 0x24c2f84
	s_mov_b32 s7, 0x3fe22d96
	s_mov_b32 s19, 0xbfd6b1d8
	s_mov_b32 s15, 0xbfcea1e5
	s_mov_b32 s21, 0x3fbedb7d
	s_mov_b32 s23, 0x3fe5384d
	v_mul_f64 v[98:99], v[70:71], s[10:11]
	v_mul_f64 v[102:103], v[84:85], s[10:11]
	;; [unrolled: 1-line block ×6, first 2 shown]
	v_add_f64 v[80:81], v[8:9], v[52:53]
	v_add_f64 v[76:77], v[46:47], -v[14:15]
	v_add_f64 v[86:87], v[44:45], -v[12:13]
	v_add_f64 v[88:89], v[10:11], v[54:55]
	v_mul_f64 v[126:127], v[72:73], s[4:5]
	v_mul_f64 v[128:129], v[78:79], s[4:5]
	;; [unrolled: 1-line block ×6, first 2 shown]
	s_mov_b32 s16, 0x93053d00
	s_mov_b32 s26, 0xd0032e0c
	;; [unrolled: 1-line block ×6, first 2 shown]
	v_fma_f64 v[20:21], v[82:83], s[6:7], -v[98:99]
	v_fma_f64 v[22:23], v[74:75], s[6:7], v[102:103]
	v_fma_f64 v[32:33], v[82:83], s[20:21], -v[100:101]
	v_fma_f64 v[34:35], v[74:75], s[20:21], v[106:107]
	;; [unrolled: 2-line block ×3, first 2 shown]
	s_mov_b32 s35, 0x3fddbe06
	s_mov_b32 s24, s4
	v_add_f64 v[96:97], v[12:13], v[44:45]
	v_add_f64 v[92:93], v[14:15], v[46:47]
	v_add_f64 v[90:91], v[62:63], -v[18:19]
	v_add_f64 v[94:95], v[60:61], -v[16:17]
	v_mul_f64 v[132:133], v[76:77], s[14:15]
	v_mul_f64 v[134:135], v[86:87], s[14:15]
	v_fma_f64 v[120:121], v[80:81], s[18:19], -v[126:127]
	v_fma_f64 v[124:125], v[88:89], s[18:19], v[128:129]
	v_mul_f64 v[144:145], v[76:77], s[24:25]
	v_mul_f64 v[154:155], v[86:87], s[24:25]
	v_fma_f64 v[148:149], v[80:81], s[16:17], -v[136:137]
	v_mul_f64 v[162:163], v[76:77], s[34:35]
	v_fma_f64 v[152:153], v[88:89], s[16:17], v[146:147]
	v_fma_f64 v[156:157], v[80:81], s[26:27], -v[142:143]
	v_add_f64 v[20:21], v[0:1], v[20:21]
	v_add_f64 v[22:23], v[2:3], v[22:23]
	;; [unrolled: 1-line block ×5, first 2 shown]
	v_mul_f64 v[188:189], v[86:87], s[34:35]
	v_fma_f64 v[158:159], v[88:89], s[26:27], v[182:183]
	v_add_f64 v[38:39], v[2:3], v[38:39]
	s_mov_b32 s38, 0xe00740e9
	s_mov_b32 s39, 0x3fec55a7
	v_add_f64 v[118:119], v[16:17], v[60:61]
	v_add_f64 v[112:113], v[18:19], v[62:63]
	v_add_f64 v[104:105], v[58:59], -v[26:27]
	v_add_f64 v[114:115], v[56:57], -v[24:25]
	v_mul_f64 v[138:139], v[90:91], s[22:23]
	v_mul_f64 v[140:141], v[94:95], s[22:23]
	v_fma_f64 v[164:165], v[96:97], s[16:17], -v[132:133]
	v_fma_f64 v[166:167], v[92:93], s[16:17], v[134:135]
	v_mul_f64 v[150:151], v[90:91], s[34:35]
	v_mul_f64 v[160:161], v[94:95], s[34:35]
	v_fma_f64 v[168:169], v[96:97], s[18:19], -v[144:145]
	v_mul_f64 v[170:171], v[90:91], s[12:13]
	v_add_f64 v[20:21], v[120:121], v[20:21]
	v_add_f64 v[22:23], v[124:125], v[22:23]
	;; [unrolled: 1-line block ×3, first 2 shown]
	v_fma_f64 v[176:177], v[92:93], s[18:19], v[154:155]
	v_fma_f64 v[178:179], v[96:97], s[38:39], -v[162:163]
	v_add_f64 v[34:35], v[152:153], v[34:35]
	v_add_f64 v[36:37], v[156:157], v[36:37]
	v_mul_f64 v[184:185], v[94:95], s[12:13]
	v_fma_f64 v[152:153], v[92:93], s[38:39], v[188:189]
	v_add_f64 v[38:39], v[158:159], v[38:39]
	s_mov_b32 s29, 0x3fefc445
	s_mov_b32 s28, s12
	;; [unrolled: 1-line block ×4, first 2 shown]
	v_add_f64 v[116:117], v[24:25], v[56:57]
	v_add_f64 v[110:111], v[26:27], v[58:59]
	v_add_f64 v[108:109], v[42:43], -v[30:31]
	v_add_f64 v[122:123], v[40:41], -v[28:29]
	v_mul_f64 v[148:149], v[104:105], s[28:29]
	v_mul_f64 v[156:157], v[114:115], s[28:29]
	v_fma_f64 v[190:191], v[118:119], s[26:27], -v[138:139]
	v_fma_f64 v[192:193], v[112:113], s[26:27], v[140:141]
	v_add_f64 v[20:21], v[164:165], v[20:21]
	v_add_f64 v[22:23], v[166:167], v[22:23]
	v_mul_f64 v[166:167], v[104:105], s[10:11]
	v_mul_f64 v[172:173], v[114:115], s[10:11]
	v_fma_f64 v[194:195], v[118:119], s[38:39], -v[150:151]
	v_add_f64 v[32:33], v[168:169], v[32:33]
	v_mul_f64 v[174:175], v[104:105], s[30:31]
	v_fma_f64 v[196:197], v[112:113], s[38:39], v[160:161]
	v_fma_f64 v[198:199], v[118:119], s[20:21], -v[170:171]
	v_add_f64 v[34:35], v[176:177], v[34:35]
	v_add_f64 v[36:37], v[178:179], v[36:37]
	v_mul_f64 v[186:187], v[114:115], s[30:31]
	v_fma_f64 v[200:201], v[112:113], s[20:21], v[184:185]
	v_add_f64 v[38:39], v[152:153], v[38:39]
	s_mov_b32 s37, 0xbfe5384d
	s_mov_b32 s36, s22
	;; [unrolled: 1-line block ×4, first 2 shown]
	v_add_f64 v[124:125], v[28:29], v[40:41]
	v_add_f64 v[120:121], v[30:31], v[42:43]
	v_mul_f64 v[152:153], v[108:109], s[34:35]
	v_mul_f64 v[158:159], v[122:123], s[34:35]
	v_fma_f64 v[202:203], v[116:117], s[20:21], -v[148:149]
	v_fma_f64 v[204:205], v[110:111], s[20:21], v[156:157]
	v_add_f64 v[20:21], v[190:191], v[20:21]
	v_add_f64 v[22:23], v[192:193], v[22:23]
	v_mul_f64 v[164:165], v[108:109], s[36:37]
	v_mul_f64 v[168:169], v[122:123], s[36:37]
	v_fma_f64 v[190:191], v[116:117], s[6:7], -v[166:167]
	v_add_f64 v[32:33], v[194:195], v[32:33]
	v_mul_f64 v[176:177], v[108:109], s[40:41]
	v_mul_f64 v[178:179], v[122:123], s[40:41]
	v_fma_f64 v[192:193], v[110:111], s[6:7], v[172:173]
	v_add_f64 v[34:35], v[196:197], v[34:35]
	v_add_f64 v[36:37], v[198:199], v[36:37]
	v_fma_f64 v[194:195], v[116:117], s[16:17], -v[174:175]
	v_fma_f64 v[196:197], v[110:111], s[16:17], v[186:187]
	v_add_f64 v[38:39], v[200:201], v[38:39]
	s_mov_b32 s33, exec_lo
	v_fma_f64 v[198:199], v[124:125], s[38:39], -v[152:153]
	v_fma_f64 v[200:201], v[120:121], s[38:39], v[158:159]
	v_add_f64 v[20:21], v[202:203], v[20:21]
	v_add_f64 v[22:23], v[204:205], v[22:23]
	v_fma_f64 v[206:207], v[124:125], s[26:27], -v[164:165]
	v_fma_f64 v[208:209], v[120:121], s[26:27], v[168:169]
	v_add_f64 v[32:33], v[190:191], v[32:33]
	v_fma_f64 v[210:211], v[124:125], s[6:7], -v[176:177]
	v_fma_f64 v[212:213], v[120:121], s[6:7], v[178:179]
	v_add_f64 v[34:35], v[192:193], v[34:35]
	v_add_f64 v[190:191], v[194:195], v[36:37]
	v_mul_hi_u32 v36, 0xaaaaaaab, v69
	v_add_f64 v[192:193], v[196:197], v[38:39]
	v_lshrrev_b32_e32 v68, 1, v36
	v_add_f64 v[36:37], v[198:199], v[20:21]
	v_add_f64 v[38:39], v[200:201], v[22:23]
	v_lshl_add_u32 v68, v68, 1, v68
	v_add_f64 v[32:33], v[206:207], v[32:33]
	v_sub_nc_u32_e32 v68, v69, v68
	v_add_f64 v[34:35], v[208:209], v[34:35]
	v_add_f64 v[20:21], v[210:211], v[190:191]
	;; [unrolled: 1-line block ×3, first 2 shown]
	v_mul_u32_u24_e32 v68, 0x186, v68
	v_lshlrev_b32_e32 v68, 4, v68
	v_cmpx_gt_u32_e32 30, v67
	s_cbranch_execz .LBB0_14
; %bb.13:
	v_add_f64 v[50:51], v[50:51], v[2:3]
	v_add_f64 v[48:49], v[48:49], v[0:1]
	v_mul_f64 v[190:191], v[84:85], s[14:15]
	v_mul_f64 v[192:193], v[82:83], s[16:17]
	;; [unrolled: 1-line block ×8, first 2 shown]
	s_mov_b32 s1, 0xbfddbe06
	s_mov_b32 s0, s34
	v_mul_f64 v[202:203], v[74:75], s[18:19]
	v_mul_f64 v[240:241], v[86:87], s[36:37]
	;; [unrolled: 1-line block ×10, first 2 shown]
	v_add_f64 v[50:51], v[54:55], v[50:51]
	v_add_f64 v[48:49], v[52:53], v[48:49]
	v_fma_f64 v[214:215], v[74:75], s[16:17], v[190:191]
	v_fma_f64 v[220:221], v[70:71], s[30:31], v[192:193]
	v_fma_f64 v[190:191], v[74:75], s[16:17], -v[190:191]
	v_fma_f64 v[192:193], v[70:71], s[14:15], v[192:193]
	v_fma_f64 v[232:233], v[74:75], s[26:27], v[200:201]
	v_fma_f64 v[200:201], v[74:75], s[26:27], -v[200:201]
	v_fma_f64 v[238:239], v[88:89], s[38:39], v[210:211]
	v_mul_f64 v[52:53], v[82:83], s[6:7]
	v_mul_f64 v[82:83], v[82:83], s[38:39]
	;; [unrolled: 1-line block ×3, first 2 shown]
	v_fma_f64 v[242:243], v[72:73], s[0:1], v[218:219]
	v_fma_f64 v[210:211], v[88:89], s[38:39], -v[210:211]
	v_fma_f64 v[218:219], v[72:73], s[34:35], v[218:219]
	v_fma_f64 v[248:249], v[88:89], s[20:21], v[230:231]
	;; [unrolled: 1-line block ×4, first 2 shown]
	v_fma_f64 v[230:231], v[88:89], s[20:21], -v[230:231]
	v_add_f64 v[106:107], v[196:197], -v[106:107]
	v_add_f64 v[180:181], v[202:203], -v[180:181]
	v_mul_f64 v[202:203], v[94:95], s[40:41]
	v_add_f64 v[46:47], v[46:47], v[50:51]
	v_add_f64 v[44:45], v[44:45], v[48:49]
	;; [unrolled: 1-line block ×8, first 2 shown]
	v_mul_f64 v[78:79], v[78:79], s[10:11]
	v_mul_f64 v[216:217], v[80:81], s[26:27]
	v_add_f64 v[100:101], v[100:101], v[194:195]
	v_fma_f64 v[194:195], v[70:71], s[0:1], v[82:83]
	v_mul_f64 v[204:205], v[80:81], s[18:19]
	v_mul_f64 v[206:207], v[88:89], s[18:19]
	v_add_f64 v[54:55], v[54:55], -v[102:103]
	v_add_f64 v[52:53], v[98:99], v[52:53]
	v_add_f64 v[130:131], v[130:131], v[198:199]
	v_mul_f64 v[234:235], v[92:93], s[38:39]
	v_add_f64 v[236:237], v[0:1], v[236:237]
	v_mul_f64 v[50:51], v[92:93], s[18:19]
	v_add_f64 v[146:147], v[212:213], -v[146:147]
	v_add_f64 v[106:107], v[2:3], v[106:107]
	v_add_f64 v[46:47], v[62:63], v[46:47]
	;; [unrolled: 1-line block ×3, first 2 shown]
	v_mul_f64 v[62:63], v[86:87], s[10:11]
	v_add_f64 v[214:215], v[238:239], v[214:215]
	v_fma_f64 v[238:239], v[92:93], s[26:27], v[240:241]
	v_add_f64 v[190:191], v[210:211], v[190:191]
	v_fma_f64 v[210:211], v[76:77], s[22:23], v[244:245]
	v_fma_f64 v[244:245], v[76:77], s[36:37], v[244:245]
	v_add_f64 v[192:193], v[218:219], v[192:193]
	v_add_f64 v[232:233], v[248:249], v[232:233]
	v_fma_f64 v[248:249], v[72:73], s[12:13], v[250:251]
	v_fma_f64 v[250:251], v[72:73], s[28:29], v[250:251]
	v_add_f64 v[200:201], v[230:231], v[200:201]
	v_fma_f64 v[69:70], v[70:71], s[34:35], v[82:83]
	v_add_f64 v[220:221], v[242:243], v[220:221]
	v_mul_f64 v[242:243], v[118:119], s[6:7]
	v_fma_f64 v[240:241], v[92:93], s[26:27], -v[240:241]
	v_add_f64 v[182:183], v[222:223], -v[182:183]
	v_add_f64 v[222:223], v[0:1], v[252:253]
	v_mul_f64 v[252:253], v[114:115], s[4:5]
	v_add_f64 v[82:83], v[136:137], v[208:209]
	v_mul_f64 v[86:87], v[86:87], s[12:13]
	v_add_f64 v[46:47], v[58:59], v[46:47]
	v_add_f64 v[44:45], v[56:57], v[44:45]
	v_mul_f64 v[56:57], v[94:95], s[30:31]
	v_mul_f64 v[58:59], v[96:97], s[6:7]
	v_fma_f64 v[218:219], v[92:93], s[6:7], v[62:63]
	v_fma_f64 v[62:63], v[92:93], s[6:7], -v[62:63]
	v_add_f64 v[214:215], v[238:239], v[214:215]
	v_fma_f64 v[238:239], v[112:113], s[6:7], v[202:203]
	v_fma_f64 v[136:137], v[88:89], s[6:7], -v[78:79]
	v_mul_f64 v[224:225], v[96:97], s[16:17]
	v_mul_f64 v[48:49], v[96:97], s[18:19]
	;; [unrolled: 1-line block ×3, first 2 shown]
	v_add_f64 v[180:181], v[2:3], v[180:181]
	v_mul_f64 v[96:97], v[96:97], s[20:21]
	v_mul_f64 v[226:227], v[92:93], s[16:17]
	v_add_f64 v[128:129], v[206:207], -v[128:129]
	v_add_f64 v[54:55], v[2:3], v[54:55]
	v_add_f64 v[126:127], v[126:127], v[204:205]
	v_add_f64 v[188:189], v[234:235], -v[188:189]
	v_mul_f64 v[234:235], v[118:119], s[16:17]
	v_add_f64 v[192:193], v[244:245], v[192:193]
	v_add_f64 v[236:237], v[250:251], v[236:237]
	;; [unrolled: 1-line block ×4, first 2 shown]
	v_fma_f64 v[44:45], v[74:75], s[38:39], -v[84:85]
	v_mul_f64 v[46:47], v[80:81], s[6:7]
	v_fma_f64 v[74:75], v[74:75], s[38:39], v[84:85]
	v_add_f64 v[84:85], v[142:143], v[216:217]
	v_fma_f64 v[244:245], v[112:113], s[16:17], v[56:57]
	v_add_f64 v[218:219], v[218:219], v[232:233]
	v_fma_f64 v[232:233], v[76:77], s[40:41], v[58:59]
	v_fma_f64 v[58:59], v[76:77], s[10:11], v[58:59]
	v_add_f64 v[62:63], v[62:63], v[200:201]
	v_mul_f64 v[200:201], v[112:113], s[38:39]
	v_add_f64 v[50:51], v[50:51], -v[154:155]
	v_add_f64 v[106:107], v[146:147], v[106:107]
	v_fma_f64 v[78:79], v[88:89], s[6:7], v[78:79]
	v_add_f64 v[210:211], v[210:211], v[220:221]
	v_fma_f64 v[220:221], v[90:91], s[10:11], v[242:243]
	v_add_f64 v[190:191], v[240:241], v[190:191]
	v_mul_f64 v[240:241], v[114:115], s[34:35]
	v_fma_f64 v[242:243], v[90:91], s[40:41], v[242:243]
	v_fma_f64 v[56:57], v[112:113], s[16:17], -v[56:57]
	v_fma_f64 v[250:251], v[110:111], s[18:19], v[252:253]
	v_add_f64 v[30:31], v[30:31], v[42:43]
	v_add_f64 v[28:29], v[28:29], v[40:41]
	;; [unrolled: 1-line block ×3, first 2 shown]
	v_fma_f64 v[142:143], v[72:73], s[10:11], v[46:47]
	v_add_f64 v[40:41], v[0:1], v[194:195]
	v_add_f64 v[42:43], v[0:1], v[52:53]
	;; [unrolled: 1-line block ×5, first 2 shown]
	v_fma_f64 v[46:47], v[72:73], s[40:41], v[46:47]
	v_add_f64 v[0:1], v[0:1], v[69:70]
	v_add_f64 v[214:215], v[238:239], v[214:215]
	v_mul_f64 v[73:74], v[94:95], s[4:5]
	v_fma_f64 v[94:95], v[92:93], s[20:21], -v[86:87]
	v_mul_f64 v[246:247], v[118:119], s[26:27]
	v_add_f64 v[222:223], v[248:249], v[222:223]
	v_mul_f64 v[248:249], v[118:119], s[38:39]
	v_add_f64 v[180:181], v[182:183], v[180:181]
	v_mul_f64 v[182:183], v[118:119], s[20:21]
	v_mul_f64 v[88:89], v[118:119], s[18:19]
	v_fma_f64 v[118:119], v[76:77], s[12:13], v[96:97]
	v_mul_f64 v[60:61], v[112:113], s[26:27]
	v_add_f64 v[26:27], v[26:27], v[30:31]
	v_add_f64 v[24:25], v[24:25], v[28:29]
	;; [unrolled: 1-line block ×3, first 2 shown]
	v_mul_f64 v[230:231], v[116:117], s[18:19]
	v_add_f64 v[28:29], v[142:143], v[40:41]
	v_fma_f64 v[202:203], v[112:113], s[6:7], -v[202:203]
	v_mul_f64 v[238:239], v[112:113], s[20:21]
	v_add_f64 v[69:70], v[226:227], -v[134:135]
	v_add_f64 v[54:55], v[128:129], v[54:55]
	v_add_f64 v[71:72], v[132:133], v[224:225]
	;; [unrolled: 1-line block ×8, first 2 shown]
	v_fma_f64 v[244:245], v[90:91], s[14:15], v[234:235]
	v_fma_f64 v[234:235], v[90:91], s[30:31], v[234:235]
	v_add_f64 v[58:59], v[58:59], v[236:237]
	v_add_f64 v[82:83], v[200:201], -v[160:161]
	v_add_f64 v[50:51], v[50:51], v[106:107]
	v_fma_f64 v[84:85], v[92:93], s[20:21], v[86:87]
	v_add_f64 v[2:3], v[78:79], v[2:3]
	v_fma_f64 v[75:76], v[76:77], s[28:29], v[96:97]
	v_add_f64 v[0:1], v[46:47], v[0:1]
	v_add_f64 v[192:193], v[242:243], v[192:193]
	v_fma_f64 v[242:243], v[110:111], s[38:39], v[240:241]
	v_fma_f64 v[240:241], v[110:111], s[38:39], -v[240:241]
	v_add_f64 v[56:57], v[56:57], v[62:63]
	v_add_f64 v[214:215], v[250:251], v[214:215]
	v_mul_f64 v[250:251], v[110:111], s[6:7]
	v_mul_f64 v[77:78], v[114:115], s[36:37]
	v_fma_f64 v[92:93], v[112:113], s[18:19], -v[73:74]
	v_add_f64 v[44:45], v[94:95], v[44:45]
	v_add_f64 v[18:19], v[18:19], v[26:27]
	;; [unrolled: 1-line block ×3, first 2 shown]
	v_mul_f64 v[86:87], v[116:117], s[26:27]
	v_fma_f64 v[94:95], v[90:91], s[4:5], v[88:89]
	v_add_f64 v[24:25], v[118:119], v[28:29]
	v_add_f64 v[210:211], v[220:221], v[210:211]
	v_fma_f64 v[220:221], v[104:105], s[24:25], v[230:231]
	v_add_f64 v[190:191], v[202:203], v[190:191]
	v_mul_f64 v[202:203], v[116:117], s[20:21]
	v_fma_f64 v[230:231], v[104:105], s[4:5], v[230:231]
	v_add_f64 v[222:223], v[232:233], v[222:223]
	v_mul_f64 v[232:233], v[110:111], s[20:21]
	v_mul_f64 v[236:237], v[110:111], s[16:17]
	v_add_f64 v[184:185], v[238:239], -v[184:185]
	v_add_f64 v[180:181], v[188:189], v[180:181]
	v_add_f64 v[60:61], v[60:61], -v[140:141]
	v_add_f64 v[54:55], v[69:70], v[54:55]
	v_add_f64 v[69:70], v[138:139], v[246:247]
	;; [unrolled: 1-line block ×3, first 2 shown]
	v_mul_f64 v[62:63], v[116:117], s[6:7]
	v_add_f64 v[46:47], v[150:151], v[248:249]
	v_add_f64 v[28:29], v[48:49], v[40:41]
	v_mul_f64 v[238:239], v[116:117], s[16:17]
	v_add_f64 v[52:53], v[170:171], v[182:183]
	v_add_f64 v[30:31], v[130:131], v[42:43]
	;; [unrolled: 1-line block ×3, first 2 shown]
	v_mul_f64 v[234:235], v[116:117], s[38:39]
	v_fma_f64 v[252:253], v[110:111], s[18:19], -v[252:253]
	v_add_f64 v[48:49], v[82:83], v[50:51]
	v_fma_f64 v[50:51], v[112:113], s[18:19], v[73:74]
	v_add_f64 v[2:3], v[84:85], v[2:3]
	v_fma_f64 v[71:72], v[90:91], s[24:25], v[88:89]
	v_add_f64 v[0:1], v[75:76], v[0:1]
	v_add_f64 v[56:57], v[240:241], v[56:57]
	v_mul_f64 v[240:241], v[120:121], s[26:27]
	v_add_f64 v[42:43], v[250:251], -v[172:173]
	v_mul_f64 v[75:76], v[122:123], s[14:15]
	v_fma_f64 v[84:85], v[110:111], s[26:27], -v[77:78]
	v_add_f64 v[44:45], v[92:93], v[44:45]
	v_add_f64 v[14:15], v[14:15], v[18:19]
	;; [unrolled: 1-line block ×3, first 2 shown]
	v_mul_f64 v[82:83], v[124:125], s[16:17]
	v_fma_f64 v[88:89], v[104:105], s[36:37], v[86:87]
	v_add_f64 v[16:17], v[94:95], v[24:25]
	v_mul_f64 v[188:189], v[124:125], s[38:39]
	v_add_f64 v[192:193], v[230:231], v[192:193]
	v_mul_f64 v[230:231], v[120:121], s[38:39]
	v_add_f64 v[186:187], v[236:237], -v[186:187]
	v_add_f64 v[180:181], v[184:185], v[180:181]
	v_mul_f64 v[184:185], v[120:121], s[6:7]
	v_add_f64 v[73:74], v[232:233], -v[156:157]
	v_add_f64 v[54:55], v[60:61], v[54:55]
	v_add_f64 v[60:61], v[148:149], v[202:203]
	;; [unrolled: 1-line block ×4, first 2 shown]
	v_mul_f64 v[242:243], v[124:125], s[26:27]
	v_add_f64 v[62:63], v[166:167], v[62:63]
	v_add_f64 v[24:25], v[46:47], v[28:29]
	v_mul_f64 v[196:197], v[124:125], s[6:7]
	v_add_f64 v[40:41], v[174:175], v[238:239]
	v_add_f64 v[26:27], v[52:53], v[30:31]
	;; [unrolled: 1-line block ×3, first 2 shown]
	v_mul_f64 v[244:245], v[122:123], s[4:5]
	v_mul_f64 v[236:237], v[124:125], s[18:19]
	v_fma_f64 v[98:99], v[104:105], s[0:1], v[234:235]
	v_fma_f64 v[234:235], v[104:105], s[34:35], v[234:235]
	v_add_f64 v[210:211], v[220:221], v[210:211]
	v_mul_f64 v[220:221], v[122:123], s[28:29]
	v_add_f64 v[190:191], v[252:253], v[190:191]
	v_mul_f64 v[252:253], v[124:125], s[20:21]
	v_fma_f64 v[46:47], v[110:111], s[26:27], v[77:78]
	v_add_f64 v[2:3], v[50:51], v[2:3]
	v_fma_f64 v[50:51], v[104:105], s[22:23], v[86:87]
	v_add_f64 v[0:1], v[71:72], v[0:1]
	v_add_f64 v[69:70], v[240:241], -v[168:169]
	v_add_f64 v[42:43], v[42:43], v[48:49]
	v_fma_f64 v[77:78], v[120:121], s[16:17], -v[75:76]
	v_add_f64 v[44:45], v[84:85], v[44:45]
	v_add_f64 v[10:11], v[10:11], v[14:15]
	;; [unrolled: 1-line block ×3, first 2 shown]
	v_fma_f64 v[84:85], v[108:109], s[14:15], v[82:83]
	v_add_f64 v[86:87], v[88:89], v[16:17]
	v_add_f64 v[28:29], v[184:185], -v[178:179]
	v_add_f64 v[30:31], v[186:187], v[180:181]
	v_add_f64 v[71:72], v[230:231], -v[158:159]
	v_add_f64 v[54:55], v[73:74], v[54:55]
	v_add_f64 v[73:74], v[152:153], v[188:189]
	v_add_f64 v[18:19], v[60:61], v[18:19]
	v_add_f64 v[48:49], v[164:165], v[242:243]
	v_add_f64 v[24:25], v[62:63], v[24:25]
	v_add_f64 v[52:53], v[176:177], v[196:197]
	v_add_f64 v[60:61], v[40:41], v[26:27]
	v_fma_f64 v[80:81], v[120:121], s[18:19], v[244:245]
	v_fma_f64 v[244:245], v[120:121], s[18:19], -v[244:245]
	v_fma_f64 v[212:213], v[108:109], s[4:5], v[236:237]
	v_add_f64 v[58:59], v[234:235], v[58:59]
	v_fma_f64 v[198:199], v[120:121], s[20:21], v[220:221]
	v_fma_f64 v[102:103], v[108:109], s[12:13], v[252:253]
	v_fma_f64 v[220:221], v[120:121], s[20:21], -v[220:221]
	v_fma_f64 v[252:253], v[108:109], s[28:29], v[252:253]
	v_fma_f64 v[62:63], v[108:109], s[24:25], v[236:237]
	v_add_f64 v[88:89], v[98:99], v[222:223]
	v_fma_f64 v[75:76], v[120:121], s[16:17], v[75:76]
	v_add_f64 v[90:91], v[46:47], v[2:3]
	;; [unrolled: 2-line block ×3, first 2 shown]
	v_add_f64 v[26:27], v[69:70], v[42:43]
	v_add_f64 v[42:43], v[77:78], v[44:45]
	;; [unrolled: 1-line block ×18, first 2 shown]
	v_mul_u32_u24_e32 v4, 0xd0, v67
	v_add_f64 v[54:55], v[75:76], v[90:91]
	v_add_f64 v[52:53], v[82:83], v[92:93]
	v_add3_u32 v4, 0, v4, v68
	ds_write_b128 v4, v[44:47]
	ds_write_b128 v4, v[40:43] offset:16
	ds_write_b128 v4, v[28:31] offset:32
	;; [unrolled: 1-line block ×12, first 2 shown]
.LBB0_14:
	s_or_b32 exec_lo, exec_lo, s33
	v_lshlrev_b32_e32 v0, 4, v67
	s_waitcnt lgkmcnt(0)
	s_barrier
	buffer_gl0_inv
	v_cmp_gt_u32_e64 s0, 13, v67
	v_add3_u32 v48, 0, v68, v0
	v_add3_u32 v49, 0, v0, v68
	ds_read_b128 v[4:7], v48
	ds_read_b128 v[0:3], v49 offset:624
	ds_read_b128 v[28:31], v49 offset:4160
	;; [unrolled: 1-line block ×8, first 2 shown]
	s_and_saveexec_b32 s1, s0
	s_cbranch_execz .LBB0_16
; %bb.15:
	ds_read_b128 v[20:23], v49 offset:1872
	ds_read_b128 v[32:35], v49 offset:3952
	;; [unrolled: 1-line block ×3, first 2 shown]
.LBB0_16:
	s_or_b32 exec_lo, exec_lo, s1
	v_add_nc_u16 v51, v67, 39
	v_and_b32_e32 v50, 0xff, v67
	v_add_nc_u16 v52, v67, 0x4e
	s_mov_b32 s4, 0xe8584caa
	s_mov_b32 s5, 0xbfebb67a
	v_and_b32_e32 v53, 0xff, v51
	v_mul_lo_u16 v50, 0x4f, v50
	v_and_b32_e32 v54, 0xff, v52
	s_mov_b32 s7, 0x3febb67a
	s_mov_b32 s6, s4
	v_mul_lo_u16 v53, 0x4f, v53
	v_lshrrev_b16 v63, 10, v50
	v_mul_lo_u16 v54, 0x4f, v54
	v_mov_b32_e32 v50, 5
	v_lshrrev_b16 v93, 10, v53
	v_mul_lo_u16 v53, v63, 13
	v_lshrrev_b16 v94, 10, v54
	v_and_b32_e32 v63, 0xffff, v63
	v_mul_lo_u16 v54, v93, 13
	v_sub_nc_u16 v95, v67, v53
	v_mul_lo_u16 v53, v94, 13
	v_sub_nc_u16 v96, v51, v54
	v_lshlrev_b32_sdwa v55, v50, v95 dst_sel:DWORD dst_unused:UNUSED_PAD src0_sel:DWORD src1_sel:BYTE_0
	v_sub_nc_u16 v97, v52, v53
	s_clause 0x1
	global_load_dwordx4 v[51:54], v55, s[8:9]
	global_load_dwordx4 v[55:58], v55, s[8:9] offset:16
	v_lshlrev_b32_sdwa v69, v50, v96 dst_sel:DWORD dst_unused:UNUSED_PAD src0_sel:DWORD src1_sel:BYTE_0
	v_lshlrev_b32_sdwa v77, v50, v97 dst_sel:DWORD dst_unused:UNUSED_PAD src0_sel:DWORD src1_sel:BYTE_0
	s_clause 0x3
	global_load_dwordx4 v[59:62], v69, s[8:9]
	global_load_dwordx4 v[69:72], v69, s[8:9] offset:16
	global_load_dwordx4 v[73:76], v77, s[8:9]
	global_load_dwordx4 v[77:80], v77, s[8:9] offset:16
	s_waitcnt vmcnt(0) lgkmcnt(0)
	s_barrier
	buffer_gl0_inv
	v_mul_f64 v[81:82], v[46:47], v[53:54]
	v_mul_f64 v[83:84], v[30:31], v[57:58]
	;; [unrolled: 1-line block ×12, first 2 shown]
	v_fma_f64 v[44:45], v[44:45], v[51:52], v[81:82]
	v_fma_f64 v[28:29], v[28:29], v[55:56], v[83:84]
	v_fma_f64 v[46:47], v[46:47], v[51:52], -v[53:54]
	v_fma_f64 v[30:31], v[30:31], v[55:56], -v[57:58]
	v_fma_f64 v[40:41], v[40:41], v[59:60], v[85:86]
	v_fma_f64 v[12:13], v[12:13], v[69:70], v[87:88]
	v_fma_f64 v[42:43], v[42:43], v[59:60], -v[61:62]
	v_fma_f64 v[14:15], v[14:15], v[69:70], -v[71:72]
	;; [unrolled: 4-line block ×3, first 2 shown]
	v_and_b32_e32 v85, 0xffff, v94
	v_add_f64 v[69:70], v[4:5], v[44:45]
	v_add_f64 v[51:52], v[44:45], v[28:29]
	v_add_f64 v[44:45], v[44:45], -v[28:29]
	v_add_f64 v[53:54], v[46:47], v[30:31]
	v_add_f64 v[71:72], v[46:47], -v[30:31]
	v_add_f64 v[55:56], v[40:41], v[12:13]
	v_add_f64 v[46:47], v[6:7], v[46:47]
	;; [unrolled: 1-line block ×9, first 2 shown]
	v_add_f64 v[42:43], v[42:43], -v[14:15]
	v_add_f64 v[81:82], v[40:41], -v[12:13]
	;; [unrolled: 1-line block ×4, first 2 shown]
	v_mad_u32_u24 v17, 0x270, v63, 0
	v_and_b32_e32 v63, 0xffff, v93
	v_fma_f64 v[51:52], v[51:52], -0.5, v[4:5]
	v_fma_f64 v[53:54], v[53:54], -0.5, v[6:7]
	;; [unrolled: 1-line block ×3, first 2 shown]
	v_mov_b32_e32 v0, 4
	v_fma_f64 v[57:58], v[57:58], -0.5, v[2:3]
	v_add_f64 v[1:2], v[69:70], v[28:29]
	v_fma_f64 v[59:60], v[59:60], -0.5, v[8:9]
	v_add_f64 v[3:4], v[46:47], v[30:31]
	;; [unrolled: 2-line block ×3, first 2 shown]
	v_add_f64 v[7:8], v[75:76], v[14:15]
	v_add_f64 v[9:10], v[77:78], v[24:25]
	;; [unrolled: 1-line block ×3, first 2 shown]
	v_fma_f64 v[13:14], v[71:72], s[4:5], v[51:52]
	v_fma_f64 v[24:25], v[71:72], s[6:7], v[51:52]
	;; [unrolled: 1-line block ×12, first 2 shown]
	v_lshlrev_b32_sdwa v18, v0, v95 dst_sel:DWORD dst_unused:UNUSED_PAD src0_sel:DWORD src1_sel:BYTE_0
	v_mad_u32_u24 v19, 0x270, v63, 0
	v_mad_u32_u24 v55, 0x270, v85, 0
	v_lshlrev_b32_sdwa v56, v0, v97 dst_sel:DWORD dst_unused:UNUSED_PAD src0_sel:DWORD src1_sel:BYTE_0
	v_add3_u32 v17, v17, v18, v68
	v_lshlrev_b32_sdwa v18, v0, v96 dst_sel:DWORD dst_unused:UNUSED_PAD src0_sel:DWORD src1_sel:BYTE_0
	v_add3_u32 v18, v19, v18, v68
	v_add3_u32 v19, v55, v56, v68
	ds_write_b128 v17, v[1:4]
	ds_write_b128 v17, v[13:16] offset:208
	ds_write_b128 v17, v[24:27] offset:416
	ds_write_b128 v18, v[5:8]
	ds_write_b128 v18, v[28:31] offset:208
	ds_write_b128 v18, v[40:43] offset:416
	ds_write_b128 v19, v[9:12]
	ds_write_b128 v19, v[44:47] offset:208
	ds_write_b128 v19, v[51:54] offset:416
	s_and_saveexec_b32 s1, s0
	s_cbranch_execz .LBB0_18
; %bb.17:
	v_add_nc_u16 v1, v67, 0x75
	v_and_b32_e32 v2, 0xff, v1
	v_mul_lo_u16 v2, 0x4f, v2
	v_lshrrev_b16 v2, 10, v2
	v_mul_lo_u16 v2, v2, 13
	v_sub_nc_u16 v24, v1, v2
	v_lshlrev_b32_sdwa v5, v50, v24 dst_sel:DWORD dst_unused:UNUSED_PAD src0_sel:DWORD src1_sel:BYTE_0
	v_lshlrev_b32_sdwa v0, v0, v24 dst_sel:DWORD dst_unused:UNUSED_PAD src0_sel:DWORD src1_sel:BYTE_0
	s_clause 0x1
	global_load_dwordx4 v[1:4], v5, s[8:9]
	global_load_dwordx4 v[5:8], v5, s[8:9] offset:16
	v_add3_u32 v0, 0, v0, v68
	s_waitcnt vmcnt(1)
	v_mul_f64 v[9:10], v[32:33], v[3:4]
	s_waitcnt vmcnt(0)
	v_mul_f64 v[11:12], v[36:37], v[7:8]
	v_mul_f64 v[3:4], v[34:35], v[3:4]
	v_mul_f64 v[7:8], v[38:39], v[7:8]
	v_fma_f64 v[9:10], v[34:35], v[1:2], -v[9:10]
	v_fma_f64 v[11:12], v[38:39], v[5:6], -v[11:12]
	v_fma_f64 v[1:2], v[32:33], v[1:2], v[3:4]
	v_fma_f64 v[5:6], v[36:37], v[5:6], v[7:8]
	v_add_f64 v[15:16], v[22:23], v[9:10]
	v_add_f64 v[3:4], v[9:10], v[11:12]
	;; [unrolled: 1-line block ×3, first 2 shown]
	v_add_f64 v[13:14], v[1:2], -v[5:6]
	v_add_f64 v[1:2], v[20:21], v[1:2]
	v_fma_f64 v[17:18], v[3:4], -0.5, v[22:23]
	v_add_f64 v[22:23], v[9:10], -v[11:12]
	v_fma_f64 v[19:20], v[7:8], -0.5, v[20:21]
	v_add_f64 v[3:4], v[15:16], v[11:12]
	v_add_f64 v[1:2], v[1:2], v[5:6]
	v_fma_f64 v[11:12], v[13:14], s[6:7], v[17:18]
	v_fma_f64 v[7:8], v[13:14], s[4:5], v[17:18]
	;; [unrolled: 1-line block ×4, first 2 shown]
	ds_write_b128 v0, v[1:4] offset:5616
	ds_write_b128 v0, v[9:12] offset:5824
	;; [unrolled: 1-line block ×3, first 2 shown]
.LBB0_18:
	s_or_b32 exec_lo, exec_lo, s1
	s_waitcnt lgkmcnt(0)
	s_barrier
	buffer_gl0_inv
	s_and_saveexec_b32 s0, vcc_lo
	s_cbranch_execz .LBB0_20
; %bb.19:
	v_mul_u32_u24_e32 v0, 9, v67
	s_mov_b32 s4, 0x134454ff
	s_mov_b32 s5, 0xbfee6f0e
	;; [unrolled: 1-line block ×4, first 2 shown]
	v_lshlrev_b32_e32 v32, 4, v0
	s_mov_b32 s6, 0x4755a5e
	s_mov_b32 s7, 0xbfe2cf23
	;; [unrolled: 1-line block ×4, first 2 shown]
	s_clause 0x8
	global_load_dwordx4 v[0:3], v32, s[8:9] offset:480
	global_load_dwordx4 v[4:7], v32, s[8:9] offset:512
	;; [unrolled: 1-line block ×9, first 2 shown]
	ds_read_b128 v[36:39], v49 offset:3120
	ds_read_b128 v[40:43], v49 offset:4368
	;; [unrolled: 1-line block ×9, first 2 shown]
	ds_read_b128 v[79:82], v48
	s_mov_b32 s0, 0x372fe950
	s_mov_b32 s1, 0x3fd3c6ef
	;; [unrolled: 1-line block ×8, first 2 shown]
	s_waitcnt vmcnt(8) lgkmcnt(9)
	v_mul_f64 v[62:63], v[36:37], v[2:3]
	s_waitcnt vmcnt(7) lgkmcnt(8)
	v_mul_f64 v[83:84], v[40:41], v[6:7]
	;; [unrolled: 2-line block ×4, first 2 shown]
	v_mul_f64 v[10:11], v[10:11], v[46:47]
	v_mul_f64 v[2:3], v[2:3], v[38:39]
	;; [unrolled: 1-line block ×4, first 2 shown]
	s_waitcnt vmcnt(0) lgkmcnt(1)
	v_mul_f64 v[95:96], v[75:76], v[34:35]
	v_mul_f64 v[48:49], v[18:19], v[54:55]
	;; [unrolled: 1-line block ×8, first 2 shown]
	v_fma_f64 v[38:39], v[0:1], v[38:39], -v[62:63]
	v_fma_f64 v[42:43], v[4:5], v[42:43], -v[83:84]
	;; [unrolled: 1-line block ×4, first 2 shown]
	v_mul_f64 v[62:63], v[24:25], v[67:68]
	v_mul_f64 v[67:68], v[28:29], v[71:72]
	v_fma_f64 v[8:9], v[8:9], v[44:45], v[10:11]
	v_fma_f64 v[0:1], v[0:1], v[36:37], v[2:3]
	;; [unrolled: 1-line block ×4, first 2 shown]
	v_fma_f64 v[10:11], v[32:33], v[77:78], -v[95:96]
	v_fma_f64 v[16:17], v[16:17], v[56:57], -v[48:49]
	;; [unrolled: 1-line block ×5, first 2 shown]
	v_fma_f64 v[6:7], v[56:57], v[18:19], v[54:55]
	v_fma_f64 v[22:23], v[60:61], v[22:23], v[58:59]
	v_add_f64 v[12:13], v[38:39], v[42:43]
	v_add_f64 v[85:86], v[38:39], -v[46:47]
	v_add_f64 v[14:15], v[46:47], v[52:53]
	v_fma_f64 v[18:19], v[69:70], v[26:27], v[62:63]
	v_fma_f64 v[26:27], v[73:74], v[30:31], v[67:68]
	;; [unrolled: 1-line block ×3, first 2 shown]
	v_add_f64 v[62:63], v[38:39], -v[42:43]
	v_add_f64 v[36:37], v[0:1], v[2:3]
	v_add_f64 v[40:41], v[8:9], v[4:5]
	v_add_f64 v[44:45], v[8:9], -v[4:5]
	v_add_f64 v[48:49], v[0:1], -v[2:3]
	;; [unrolled: 1-line block ×5, first 2 shown]
	v_add_f64 v[50:51], v[20:21], v[28:29]
	v_add_f64 v[69:70], v[46:47], -v[38:39]
	v_add_f64 v[71:72], v[52:53], -v[42:43]
	v_add_f64 v[77:78], v[16:17], v[24:25]
	v_add_f64 v[87:88], v[42:43], -v[52:53]
	v_add_f64 v[58:59], v[8:9], -v[0:1]
	;; [unrolled: 1-line block ×3, first 2 shown]
	s_waitcnt lgkmcnt(0)
	v_add_f64 v[93:94], v[16:17], v[81:82]
	v_fma_f64 v[12:13], v[12:13], -0.5, v[10:11]
	v_add_f64 v[105:106], v[22:23], -v[6:7]
	v_fma_f64 v[14:15], v[14:15], -0.5, v[10:11]
	v_add_f64 v[99:100], v[6:7], v[18:19]
	v_add_f64 v[89:90], v[22:23], v[26:27]
	v_add_f64 v[54:55], v[6:7], -v[18:19]
	v_add_f64 v[10:11], v[46:47], v[10:11]
	v_fma_f64 v[36:37], v[36:37], -0.5, v[30:31]
	v_fma_f64 v[40:41], v[40:41], -0.5, v[30:31]
	v_add_f64 v[46:47], v[6:7], -v[22:23]
	v_add_f64 v[6:7], v[6:7], v[79:80]
	v_add_f64 v[8:9], v[8:9], v[30:31]
	v_add_f64 v[56:57], v[22:23], -v[26:27]
	v_add_f64 v[60:61], v[4:5], -v[2:3]
	;; [unrolled: 1-line block ×7, first 2 shown]
	v_fma_f64 v[30:31], v[50:51], -0.5, v[81:82]
	v_fma_f64 v[50:51], v[77:78], -0.5, v[81:82]
	v_add_f64 v[69:70], v[69:70], v[71:72]
	v_fma_f64 v[95:96], v[44:45], s[4:5], v[12:13]
	v_fma_f64 v[12:13], v[44:45], s[10:11], v[12:13]
	;; [unrolled: 1-line block ×4, first 2 shown]
	v_add_f64 v[71:72], v[85:86], v[87:88]
	v_fma_f64 v[77:78], v[89:90], -0.5, v[79:80]
	v_add_f64 v[32:33], v[32:33], v[34:35]
	v_fma_f64 v[81:82], v[67:68], s[10:11], v[36:37]
	v_fma_f64 v[85:86], v[62:63], s[4:5], v[40:41]
	;; [unrolled: 1-line block ×4, first 2 shown]
	v_fma_f64 v[34:35], v[99:100], -0.5, v[79:80]
	v_add_f64 v[20:21], v[20:21], v[93:94]
	v_add_f64 v[10:11], v[38:39], v[10:11]
	;; [unrolled: 1-line block ×4, first 2 shown]
	v_add_f64 v[101:102], v[18:19], -v[26:27]
	v_fma_f64 v[8:9], v[54:55], s[4:5], v[30:31]
	v_fma_f64 v[22:23], v[56:57], s[10:11], v[50:51]
	;; [unrolled: 1-line block ×7, first 2 shown]
	v_add_f64 v[44:45], v[26:27], -v[18:19]
	v_add_f64 v[48:49], v[58:59], v[60:61]
	v_add_f64 v[58:59], v[83:84], v[91:92]
	v_fma_f64 v[30:31], v[54:55], s[10:11], v[30:31]
	v_fma_f64 v[50:51], v[16:17], s[10:11], v[77:78]
	;; [unrolled: 1-line block ×6, first 2 shown]
	v_add_f64 v[20:21], v[28:29], v[20:21]
	v_add_f64 v[10:11], v[42:43], v[10:11]
	;; [unrolled: 1-line block ×5, first 2 shown]
	v_fma_f64 v[2:3], v[56:57], s[6:7], v[8:9]
	v_fma_f64 v[8:9], v[54:55], s[6:7], v[22:23]
	;; [unrolled: 1-line block ×7, first 2 shown]
	v_add_f64 v[69:70], v[73:74], v[75:76]
	v_fma_f64 v[71:72], v[103:104], s[4:5], v[34:35]
	v_fma_f64 v[34:35], v[103:104], s[10:11], v[34:35]
	;; [unrolled: 1-line block ×9, first 2 shown]
	v_add_f64 v[44:45], v[105:106], v[44:45]
	v_add_f64 v[20:21], v[24:25], v[20:21]
	v_add_f64 v[10:11], v[52:53], v[10:11]
	v_add_f64 v[18:19], v[18:19], v[6:7]
	v_add_f64 v[4:5], v[4:5], v[0:1]
	v_fma_f64 v[24:25], v[32:33], s[0:1], v[2:3]
	v_lshlrev_b64 v[0:1], 4, v[64:65]
	v_mul_f64 v[42:43], v[62:63], s[14:15]
	v_mul_f64 v[54:55], v[12:13], s[16:17]
	;; [unrolled: 1-line block ×5, first 2 shown]
	v_fma_f64 v[58:59], v[16:17], s[12:13], v[71:72]
	v_fma_f64 v[16:17], v[16:17], s[6:7], v[34:35]
	;; [unrolled: 1-line block ×3, first 2 shown]
	v_mul_f64 v[14:15], v[14:15], s[4:5]
	v_mul_f64 v[60:61], v[67:68], s[4:5]
	;; [unrolled: 1-line block ×3, first 2 shown]
	v_fma_f64 v[52:53], v[69:70], s[0:1], v[8:9]
	v_fma_f64 v[62:63], v[69:70], s[0:1], v[22:23]
	;; [unrolled: 1-line block ×4, first 2 shown]
	v_mov_b32_e32 v67, 0
	v_add_f64 v[6:7], v[20:21], v[10:11]
	v_add_f64 v[2:3], v[20:21], -v[10:11]
	v_fma_f64 v[26:27], v[30:31], s[12:13], v[42:43]
	v_fma_f64 v[28:29], v[38:39], s[10:11], v[48:49]
	;; [unrolled: 1-line block ×11, first 2 shown]
	v_add_co_u32 v58, vcc_lo, s2, v0
	v_add_co_ci_u32_e32 v59, vcc_lo, s3, v1, vcc_lo
	v_add_f64 v[0:1], v[18:19], -v[4:5]
	v_add_f64 v[4:5], v[18:19], v[4:5]
	v_lshlrev_b64 v[56:57], 4, v[66:67]
	v_add_f64 v[10:11], v[24:25], -v[26:27]
	v_add_f64 v[26:27], v[24:25], v[26:27]
	v_add_f64 v[14:15], v[52:53], -v[28:29]
	v_add_f64 v[38:39], v[32:33], v[48:49]
	;; [unrolled: 2-line block ×3, first 2 shown]
	v_add_f64 v[36:37], v[44:45], v[12:13]
	v_add_f64 v[34:35], v[62:63], v[42:43]
	;; [unrolled: 1-line block ×5, first 2 shown]
	v_add_f64 v[20:21], v[44:45], -v[12:13]
	v_add_f64 v[18:19], v[62:63], -v[42:43]
	;; [unrolled: 1-line block ×5, first 2 shown]
	v_add_co_u32 v40, vcc_lo, v58, v56
	v_add_co_ci_u32_e32 v41, vcc_lo, v59, v57, vcc_lo
	v_add_co_u32 v42, vcc_lo, 0x800, v40
	v_add_co_ci_u32_e32 v43, vcc_lo, 0, v41, vcc_lo
	;; [unrolled: 2-line block ×3, first 2 shown]
	global_store_dwordx4 v[40:41], v[4:7], off
	global_store_dwordx4 v[42:43], v[0:3], off offset:1072
	global_store_dwordx4 v[40:41], v[36:39], off offset:624
	;; [unrolled: 1-line block ×9, first 2 shown]
.LBB0_20:
	s_endpgm
	.section	.rodata,"a",@progbits
	.p2align	6, 0x0
	.amdhsa_kernel fft_rtc_back_len390_factors_13_3_10_wgs_117_tpt_39_dp_ip_CI_unitstride_sbrr_dirReg
		.amdhsa_group_segment_fixed_size 0
		.amdhsa_private_segment_fixed_size 0
		.amdhsa_kernarg_size 88
		.amdhsa_user_sgpr_count 6
		.amdhsa_user_sgpr_private_segment_buffer 1
		.amdhsa_user_sgpr_dispatch_ptr 0
		.amdhsa_user_sgpr_queue_ptr 0
		.amdhsa_user_sgpr_kernarg_segment_ptr 1
		.amdhsa_user_sgpr_dispatch_id 0
		.amdhsa_user_sgpr_flat_scratch_init 0
		.amdhsa_user_sgpr_private_segment_size 0
		.amdhsa_wavefront_size32 1
		.amdhsa_uses_dynamic_stack 0
		.amdhsa_system_sgpr_private_segment_wavefront_offset 0
		.amdhsa_system_sgpr_workgroup_id_x 1
		.amdhsa_system_sgpr_workgroup_id_y 0
		.amdhsa_system_sgpr_workgroup_id_z 0
		.amdhsa_system_sgpr_workgroup_info 0
		.amdhsa_system_vgpr_workitem_id 0
		.amdhsa_next_free_vgpr 254
		.amdhsa_next_free_sgpr 42
		.amdhsa_reserve_vcc 1
		.amdhsa_reserve_flat_scratch 0
		.amdhsa_float_round_mode_32 0
		.amdhsa_float_round_mode_16_64 0
		.amdhsa_float_denorm_mode_32 3
		.amdhsa_float_denorm_mode_16_64 3
		.amdhsa_dx10_clamp 1
		.amdhsa_ieee_mode 1
		.amdhsa_fp16_overflow 0
		.amdhsa_workgroup_processor_mode 1
		.amdhsa_memory_ordered 1
		.amdhsa_forward_progress 0
		.amdhsa_shared_vgpr_count 0
		.amdhsa_exception_fp_ieee_invalid_op 0
		.amdhsa_exception_fp_denorm_src 0
		.amdhsa_exception_fp_ieee_div_zero 0
		.amdhsa_exception_fp_ieee_overflow 0
		.amdhsa_exception_fp_ieee_underflow 0
		.amdhsa_exception_fp_ieee_inexact 0
		.amdhsa_exception_int_div_zero 0
	.end_amdhsa_kernel
	.text
.Lfunc_end0:
	.size	fft_rtc_back_len390_factors_13_3_10_wgs_117_tpt_39_dp_ip_CI_unitstride_sbrr_dirReg, .Lfunc_end0-fft_rtc_back_len390_factors_13_3_10_wgs_117_tpt_39_dp_ip_CI_unitstride_sbrr_dirReg
                                        ; -- End function
	.section	.AMDGPU.csdata,"",@progbits
; Kernel info:
; codeLenInByte = 8796
; NumSgprs: 44
; NumVgprs: 254
; ScratchSize: 0
; MemoryBound: 1
; FloatMode: 240
; IeeeMode: 1
; LDSByteSize: 0 bytes/workgroup (compile time only)
; SGPRBlocks: 5
; VGPRBlocks: 31
; NumSGPRsForWavesPerEU: 44
; NumVGPRsForWavesPerEU: 254
; Occupancy: 4
; WaveLimiterHint : 1
; COMPUTE_PGM_RSRC2:SCRATCH_EN: 0
; COMPUTE_PGM_RSRC2:USER_SGPR: 6
; COMPUTE_PGM_RSRC2:TRAP_HANDLER: 0
; COMPUTE_PGM_RSRC2:TGID_X_EN: 1
; COMPUTE_PGM_RSRC2:TGID_Y_EN: 0
; COMPUTE_PGM_RSRC2:TGID_Z_EN: 0
; COMPUTE_PGM_RSRC2:TIDIG_COMP_CNT: 0
	.text
	.p2alignl 6, 3214868480
	.fill 48, 4, 3214868480
	.type	__hip_cuid_75a2d9fe95585820,@object ; @__hip_cuid_75a2d9fe95585820
	.section	.bss,"aw",@nobits
	.globl	__hip_cuid_75a2d9fe95585820
__hip_cuid_75a2d9fe95585820:
	.byte	0                               ; 0x0
	.size	__hip_cuid_75a2d9fe95585820, 1

	.ident	"AMD clang version 19.0.0git (https://github.com/RadeonOpenCompute/llvm-project roc-6.4.0 25133 c7fe45cf4b819c5991fe208aaa96edf142730f1d)"
	.section	".note.GNU-stack","",@progbits
	.addrsig
	.addrsig_sym __hip_cuid_75a2d9fe95585820
	.amdgpu_metadata
---
amdhsa.kernels:
  - .args:
      - .actual_access:  read_only
        .address_space:  global
        .offset:         0
        .size:           8
        .value_kind:     global_buffer
      - .offset:         8
        .size:           8
        .value_kind:     by_value
      - .actual_access:  read_only
        .address_space:  global
        .offset:         16
        .size:           8
        .value_kind:     global_buffer
      - .actual_access:  read_only
        .address_space:  global
        .offset:         24
        .size:           8
        .value_kind:     global_buffer
      - .offset:         32
        .size:           8
        .value_kind:     by_value
      - .actual_access:  read_only
        .address_space:  global
        .offset:         40
        .size:           8
        .value_kind:     global_buffer
      - .actual_access:  read_only
        .address_space:  global
        .offset:         48
        .size:           8
        .value_kind:     global_buffer
      - .offset:         56
        .size:           4
        .value_kind:     by_value
      - .actual_access:  read_only
        .address_space:  global
        .offset:         64
        .size:           8
        .value_kind:     global_buffer
      - .actual_access:  read_only
        .address_space:  global
        .offset:         72
        .size:           8
        .value_kind:     global_buffer
      - .address_space:  global
        .offset:         80
        .size:           8
        .value_kind:     global_buffer
    .group_segment_fixed_size: 0
    .kernarg_segment_align: 8
    .kernarg_segment_size: 88
    .language:       OpenCL C
    .language_version:
      - 2
      - 0
    .max_flat_workgroup_size: 117
    .name:           fft_rtc_back_len390_factors_13_3_10_wgs_117_tpt_39_dp_ip_CI_unitstride_sbrr_dirReg
    .private_segment_fixed_size: 0
    .sgpr_count:     44
    .sgpr_spill_count: 0
    .symbol:         fft_rtc_back_len390_factors_13_3_10_wgs_117_tpt_39_dp_ip_CI_unitstride_sbrr_dirReg.kd
    .uniform_work_group_size: 1
    .uses_dynamic_stack: false
    .vgpr_count:     254
    .vgpr_spill_count: 0
    .wavefront_size: 32
    .workgroup_processor_mode: 1
amdhsa.target:   amdgcn-amd-amdhsa--gfx1030
amdhsa.version:
  - 1
  - 2
...

	.end_amdgpu_metadata
